;; amdgpu-corpus repo=ROCm/bitsandbytes kind=harvested arch=n/a opt=n/a
	.text
	.amdgcn_target "amdgcn-amd-amdhsa--gfx90a"
	.amdhsa_code_object_version 6
	.protected	_Z35kOptimizerStatic8bit1StateBlockwiseI6__halfLi5ELi256ELi1EEvPT_S2_PhfffifPfS4_ffbi ; -- Begin function _Z35kOptimizerStatic8bit1StateBlockwiseI6__halfLi5ELi256ELi1EEvPT_S2_PhfffifPfS4_ffbi
	.globl	_Z35kOptimizerStatic8bit1StateBlockwiseI6__halfLi5ELi256ELi1EEvPT_S2_PhfffifPfS4_ffbi
	.p2align	8
	.type	_Z35kOptimizerStatic8bit1StateBlockwiseI6__halfLi5ELi256ELi1EEvPT_S2_PhfffifPfS4_ffbi,@function
_Z35kOptimizerStatic8bit1StateBlockwiseI6__halfLi5ELi256ELi1EEvPT_S2_PhfffifPfS4_ffbi: ; @_Z35kOptimizerStatic8bit1StateBlockwiseI6__halfLi5ELi256ELi1EEvPT_S2_PhfffifPfS4_ffbi
; %bb.0:
	s_load_dwordx2 s[0:1], s[4:5], 0x30
	s_load_dword s2, s[4:5], 0x50
	v_lshlrev_b32_e32 v1, 2, v0
	s_lshl_b32 s28, s6, 8
	s_waitcnt lgkmcnt(0)
	global_load_dword v2, v1, s[0:1]
	s_lshl_b32 s33, s2, 8
	s_cmp_ge_u32 s28, s33
	s_waitcnt vmcnt(0)
	ds_write_b32 v1, v2
	ds_write_b32 v1, v2 offset:1028
	s_waitcnt lgkmcnt(0)
	s_barrier
	s_cbranch_scc1 .LBB175_41
; %bb.1:
	s_load_dwordx4 s[24:27], s[4:5], 0x40
	s_load_dwordx8 s[16:23], s[4:5], 0x0
	s_load_dword s36, s[4:5], 0x28
	s_load_dwordx2 s[30:31], s[4:5], 0x38
	v_mbcnt_lo_u32_b32 v6, -1, 0
	v_mbcnt_hi_u32_b32 v6, -1, v6
	v_lshlrev_b32_e32 v10, 1, v6
	v_and_b32_e32 v8, 0xc0, v0
	s_waitcnt lgkmcnt(0)
	v_mov_b32_e32 v11, s19
	v_add_co_u32_e32 v10, vcc, s18, v10
	v_addc_co_u32_e32 v11, vcc, 0, v11, vcc
	v_lshlrev_b32_e32 v12, 1, v8
	v_add_co_u32_e32 v10, vcc, v10, v12
	v_and_b32_e32 v1, 1, v0
	v_addc_co_u32_e32 v11, vcc, 0, v11, vcc
	v_and_b32_e32 v20, 3, v6
	v_mul_u32_u24_e32 v3, 0x404, v1
	v_cmp_ne_u32_e32 vcc, 3, v20
	ds_read2_b32 v[4:5], v3 offset0:63 offset1:127
	ds_read_b32 v2, v3 offset:764
	v_addc_co_u32_e32 v19, vcc, 0, v6, vcc
	v_lshrrev_b32_e32 v17, 4, v0
	v_mov_b32_e32 v18, 0xa10
	v_cmp_gt_u32_e32 vcc, 2, v20
	s_bitcmp1_b32 s26, 0
	v_and_or_b32 v17, v17, 12, v18
	v_lshl_or_b32 v18, v20, 2, v18
	v_cndmask_b32_e64 v20, 0, 1, vcc
	s_cselect_b64 s[34:35], -1, 0
	v_add_u32_e32 v7, v6, v8
	v_mov_b32_e32 v12, 0x810
	v_mov_b32_e32 v13, s24
	v_bfrev_b32_e32 v16, 0.5
	v_lshlrev_b32_e32 v20, 1, v20
	s_movk_i32 s37, 0x404
	s_mov_b32 s29, 0
	v_mov_b32_e32 v9, 0
	v_lshl_add_u32 v12, v7, 1, v12
	v_cmp_gt_f32_e64 s[0:1], s24, 0
	v_fma_f32 v13, -s36, v13, 1.0
	v_sub_f32_e64 v14, 1.0, s22
	v_sub_f32_e64 v15, 1.0, s23
	v_lshl_or_b32 v16, v6, 2, v16
	v_cmp_eq_u32_e64 s[2:3], 0, v6
	v_cmp_gt_u32_e64 s[4:5], 64, v0
	v_lshlrev_b32_e32 v19, 2, v19
	v_add_lshl_u32 v20, v20, v6, 2
	v_cmp_eq_u32_e64 s[6:7], 0, v0
	v_cmp_ne_u32_e64 s[8:9], 0, v0
	s_sub_i32 s24, s27, s28
	s_xor_b64 s[18:19], s[34:35], -1
	v_lshlrev_b32_e32 v0, 1, v6
	v_lshlrev_b32_e32 v21, 1, v8
	v_mov_b32_e32 v22, 2
	v_mov_b32_e32 v23, 0xbf
	;; [unrolled: 1-line block ×3, first 2 shown]
	v_not_b32_e32 v25, 31
	v_mov_b32_e32 v26, 0xff
                                        ; implicit-def: $vgpr27
	s_branch .LBB175_3
.LBB175_2:                              ;   in Loop: Header=BB175_3 Depth=1
	s_or_b64 exec, exec, s[12:13]
	v_mov_b32_e32 v28, s33
	v_add_co_u32_e32 v28, vcc, s28, v28
	v_readfirstlane_b32 s28, v28
	s_andn2_b64 vcc, exec, vcc
	s_sub_i32 s24, s24, s33
	s_cbranch_vccnz .LBB175_41
.LBB175_3:                              ; =>This Inner Loop Header: Depth=1
	s_min_u32 s10, s24, 0x100
	v_cmp_gt_u32_e64 s[10:11], s10, v7
	v_mov_b32_e32 v28, 0
	s_waitcnt lgkmcnt(0)
	s_barrier
	s_and_saveexec_b64 s[12:13], s[10:11]
	s_cbranch_execz .LBB175_5
; %bb.4:                                ;   in Loop: Header=BB175_3 Depth=1
	s_lshl_b64 s[14:15], s[28:29], 1
	v_mov_b32_e32 v29, s15
	v_add_co_u32_e32 v28, vcc, s14, v10
	v_addc_co_u32_e32 v29, vcc, v11, v29, vcc
	global_load_ushort v28, v[28:29], off
.LBB175_5:                              ;   in Loop: Header=BB175_3 Depth=1
	s_or_b64 exec, exec, s[12:13]
	s_waitcnt vmcnt(0)
	ds_write_b16 v12, v28
	; wave barrier
	ds_read_u16 v28, v12
	s_add_u32 s38, s20, s28
	s_addc_u32 s39, s21, 0
	v_mov_b32_e32 v29, 0x80
	s_waitcnt lgkmcnt(0)
	s_barrier
	s_and_saveexec_b64 s[12:13], s[10:11]
	s_cbranch_execz .LBB175_7
; %bb.6:                                ;   in Loop: Header=BB175_3 Depth=1
	v_mov_b32_e32 v29, s39
	v_add_co_u32_e32 v30, vcc, s38, v6
	v_addc_co_u32_e32 v29, vcc, 0, v29, vcc
	v_add_co_u32_e32 v30, vcc, v30, v8
	v_addc_co_u32_e32 v31, vcc, 0, v29, vcc
	global_load_ubyte v29, v[30:31], off
.LBB175_7:                              ;   in Loop: Header=BB175_3 Depth=1
	s_or_b64 exec, exec, s[12:13]
	s_waitcnt vmcnt(0)
	ds_write_b8 v7, v29 offset:2064
	; wave barrier
	ds_read_u8 v30, v7 offset:2064
	s_lshl_b64 s[12:13], s[28:29], 1
	s_add_u32 s14, s16, s12
	s_addc_u32 s15, s17, s13
	v_mov_b32_e32 v29, 0
	s_waitcnt lgkmcnt(0)
	s_barrier
	s_and_saveexec_b64 s[12:13], s[10:11]
	s_cbranch_execz .LBB175_9
; %bb.8:                                ;   in Loop: Header=BB175_3 Depth=1
	v_mov_b32_e32 v29, s15
	v_add_co_u32_e32 v31, vcc, s14, v0
	v_addc_co_u32_e32 v29, vcc, 0, v29, vcc
	v_add_co_u32_e32 v32, vcc, v31, v21
	v_addc_co_u32_e32 v33, vcc, 0, v29, vcc
	global_load_ushort v29, v[32:33], off
.LBB175_9:                              ;   in Loop: Header=BB175_3 Depth=1
	s_or_b64 exec, exec, s[12:13]
	s_waitcnt vmcnt(0)
	ds_write_b16 v12, v29
	; wave barrier
	ds_read_u16 v29, v12
	v_cmp_neq_f16_e32 vcc, 0, v28
	s_or_b64 s[26:27], s[18:19], vcc
	s_and_saveexec_b64 s[12:13], s[26:27]
	s_cbranch_execz .LBB175_11
; %bb.10:                               ;   in Loop: Header=BB175_3 Depth=1
	s_lshr_b32 s26, s28, 6
	v_mov_b32_e32 v27, s26
	global_load_dword v27, v27, s[30:31]
	v_lshlrev_b32_sdwa v30, v22, v30 dst_sel:DWORD dst_unused:UNUSED_PAD src0_sel:DWORD src1_sel:BYTE_0
	v_mad_u32_u24 v30, v1, s37, v30
	ds_read_b32 v30, v30
	v_cvt_f32_f16_e32 v28, v28
	v_mul_f32_e32 v31, s25, v28
	s_waitcnt vmcnt(0) lgkmcnt(0)
	v_mul_f32_e32 v27, v30, v27
	v_mul_f32_e32 v28, s22, v27
	v_fmac_f32_e32 v28, v14, v31
	v_cmp_lt_f32_e32 vcc, 0, v28
	v_cndmask_b32_e64 v30, 0, 1, vcc
	v_cmp_gt_f32_e32 vcc, 0, v28
	v_subbrev_co_u32_e32 v28, vcc, 0, v30, vcc
	v_cvt_f32_i32_e32 v28, v28
	v_fma_mixlo_f16 v30, v13, v29, 0 op_sel_hi:[0,1,0]
	v_mul_f32_e32 v27, s23, v27
	v_cndmask_b32_e64 v29, v29, v30, s[0:1]
	v_fma_mixlo_f16 v28, v28, s36, 0
	v_fmac_f32_e32 v27, v15, v31
.LBB175_11:                             ;   in Loop: Header=BB175_3 Depth=1
	s_or_b64 exec, exec, s[12:13]
	v_max_f32_e64 v30, |v27|, |v27|
	v_max_f32_e32 v30, 0xff7fffff, v30
	s_nop 1
	v_mov_b32_dpp v31, v30 quad_perm:[1,0,3,2] row_mask:0xf bank_mask:0xf
	v_cmp_gt_f32_e32 vcc, v30, v31
	v_cndmask_b32_e32 v30, v31, v30, vcc
	s_nop 1
	v_mov_b32_dpp v31, v30 quad_perm:[2,3,0,1] row_mask:0xf bank_mask:0xf
	v_cmp_gt_f32_e32 vcc, v30, v31
	v_cndmask_b32_e32 v30, v31, v30, vcc
	s_nop 1
	v_mov_b32_dpp v31, v30 row_ror:4 row_mask:0xf bank_mask:0xf
	v_cmp_gt_f32_e32 vcc, v30, v31
	v_cndmask_b32_e32 v30, v31, v30, vcc
	s_nop 1
	v_mov_b32_dpp v31, v30 row_ror:8 row_mask:0xf bank_mask:0xf
	v_cmp_gt_f32_e32 vcc, v30, v31
	v_cndmask_b32_e32 v30, v31, v30, vcc
	s_nop 1
	v_mov_b32_dpp v31, v30 row_bcast:15 row_mask:0xf bank_mask:0xf
	v_cmp_gt_f32_e32 vcc, v30, v31
	v_cndmask_b32_e32 v30, v31, v30, vcc
	s_nop 1
	v_mov_b32_dpp v31, v30 row_bcast:31 row_mask:0xf bank_mask:0xf
	v_cmp_gt_f32_e32 vcc, v30, v31
	v_cndmask_b32_e32 v30, v31, v30, vcc
	ds_bpermute_b32 v30, v16, v30
	s_and_saveexec_b64 s[12:13], s[2:3]
	s_xor_b64 s[12:13], exec, s[12:13]
	s_cbranch_execz .LBB175_13
; %bb.12:                               ;   in Loop: Header=BB175_3 Depth=1
	s_waitcnt lgkmcnt(0)
	ds_write_b32 v17, v30
.LBB175_13:                             ;   in Loop: Header=BB175_3 Depth=1
	s_or_b64 exec, exec, s[12:13]
	s_waitcnt lgkmcnt(0)
	s_barrier
	s_and_saveexec_b64 s[12:13], s[4:5]
	s_cbranch_execz .LBB175_15
; %bb.14:                               ;   in Loop: Header=BB175_3 Depth=1
	ds_read_b32 v30, v18
	s_waitcnt lgkmcnt(0)
	ds_bpermute_b32 v31, v19, v30
	s_waitcnt lgkmcnt(0)
	v_cmp_lt_f32_e32 vcc, v30, v31
	v_cndmask_b32_e32 v30, v30, v31, vcc
	ds_bpermute_b32 v31, v20, v30
	s_waitcnt lgkmcnt(0)
	v_cmp_lt_f32_e32 vcc, v30, v31
	v_cndmask_b32_e32 v30, v30, v31, vcc
.LBB175_15:                             ;   in Loop: Header=BB175_3 Depth=1
	s_or_b64 exec, exec, s[12:13]
	s_and_saveexec_b64 s[12:13], s[6:7]
	s_cbranch_execz .LBB175_17
; %bb.16:                               ;   in Loop: Header=BB175_3 Depth=1
	ds_write_b32 v9, v30 offset:2056
.LBB175_17:                             ;   in Loop: Header=BB175_3 Depth=1
	s_or_b64 exec, exec, s[12:13]
	s_waitcnt lgkmcnt(0)
	s_barrier
	s_and_saveexec_b64 s[12:13], s[8:9]
	s_xor_b64 s[12:13], exec, s[12:13]
	s_cbranch_execz .LBB175_19
; %bb.18:                               ;   in Loop: Header=BB175_3 Depth=1
	ds_read_b32 v30, v9 offset:2056
.LBB175_19:                             ;   in Loop: Header=BB175_3 Depth=1
	s_andn2_saveexec_b64 s[12:13], s[12:13]
	s_cbranch_execz .LBB175_21
; %bb.20:                               ;   in Loop: Header=BB175_3 Depth=1
	s_lshr_b32 s26, s28, 6
	v_mov_b32_e32 v31, s26
	s_waitcnt lgkmcnt(0)
	global_store_dword v31, v30, s[30:31]
.LBB175_21:                             ;   in Loop: Header=BB175_3 Depth=1
	s_or_b64 exec, exec, s[12:13]
	v_cmp_eq_f16_e32 vcc, 0, v28
	v_sub_f16_e32 v28, v29, v28
	s_and_b64 vcc, s[34:35], vcc
	v_cndmask_b32_e32 v28, v28, v29, vcc
	s_waitcnt lgkmcnt(0)
	s_barrier
	ds_write_b16 v12, v28
	; wave barrier
	s_and_saveexec_b64 s[12:13], s[10:11]
	s_cbranch_execz .LBB175_23
; %bb.22:                               ;   in Loop: Header=BB175_3 Depth=1
	ds_read_u16 v32, v12
	v_mov_b32_e32 v28, s15
	v_add_co_u32_e32 v29, vcc, s14, v0
	v_addc_co_u32_e32 v31, vcc, 0, v28, vcc
	v_add_co_u32_e32 v28, vcc, v29, v21
	v_addc_co_u32_e32 v29, vcc, 0, v31, vcc
	s_waitcnt lgkmcnt(0)
	global_store_short v[28:29], v32, off
.LBB175_23:                             ;   in Loop: Header=BB175_3 Depth=1
	s_or_b64 exec, exec, s[12:13]
	v_div_scale_f32 v28, s[12:13], v30, v30, v27
	v_rcp_f32_e32 v29, v28
	v_div_scale_f32 v31, vcc, v27, v30, v27
	v_mov_b32_e32 v37, -16
	v_fma_f32 v32, -v28, v29, 1.0
	v_fmac_f32_e32 v29, v32, v29
	v_mul_f32_e32 v32, v31, v29
	v_fma_f32 v33, -v28, v32, v31
	v_fmac_f32_e32 v32, v33, v29
	v_fma_f32 v28, -v28, v32, v31
	v_div_fmas_f32 v28, v28, v29, v32
	v_div_fixup_f32 v28, v28, v30, v27
	v_cmp_lt_f32_e32 vcc, v5, v28
	v_cndmask_b32_e64 v29, 0, 1, vcc
	v_lshlrev_b32_e32 v29, 1, v29
	v_cmp_eq_u32_e64 s[12:13], 1, v29
	v_cndmask_b32_e64 v30, v4, v5, s[12:13]
	v_cmp_eq_u32_e64 s[12:13], 2, v29
	v_cndmask_b32_e64 v36, v30, v2, s[12:13]
	v_cmp_lt_f32_e64 s[12:13], v36, v28
	v_cndmask_b32_e32 v35, 63, v23, vcc
	v_cndmask_b32_e64 v29, v25, 32, s[12:13]
	v_add_u32_e32 v31, v29, v35
	v_lshl_add_u32 v32, v31, 2, v3
	ds_read_b32 v29, v32
	v_cndmask_b32_e32 v30, 0, v24, vcc
	v_cndmask_b32_e32 v34, -1.0, v5, vcc
	v_cndmask_b32_e64 v33, v30, v35, s[12:13]
	v_cndmask_b32_e64 v34, v34, v36, s[12:13]
	s_waitcnt lgkmcnt(0)
	v_cmp_lt_f32_e64 s[14:15], v29, v28
	v_mov_b32_e32 v30, v31
	s_and_saveexec_b64 s[26:27], s[14:15]
; %bb.24:                               ;   in Loop: Header=BB175_3 Depth=1
	v_cndmask_b32_e32 v30, v24, v26, vcc
	v_cndmask_b32_e64 v33, v5, 1.0, vcc
	v_cndmask_b32_e64 v30, v35, v30, s[12:13]
	v_cndmask_b32_e64 v35, v36, v33, s[12:13]
	v_mov_b32_e32 v37, 16
	v_mov_b32_e32 v33, v31
	v_mov_b32_e32 v34, v29
	v_mov_b32_e32 v29, v35
; %bb.25:                               ;   in Loop: Header=BB175_3 Depth=1
	s_or_b64 exec, exec, s[26:27]
	v_lshl_add_u32 v32, v37, 2, v32
	ds_read_b32 v38, v32
	v_add_u32_e32 v39, v37, v31
	v_mov_b32_e32 v37, -4
	s_waitcnt lgkmcnt(0)
	v_cmp_lt_f32_e32 vcc, v38, v28
	v_cndmask_b32_e64 v40, -8, 8, vcc
	v_lshl_add_u32 v36, v40, 2, v32
	ds_read_b32 v31, v36
	v_cndmask_b32_e32 v35, v34, v38, vcc
	v_add_u32_e32 v34, v40, v39
	v_cndmask_b32_e32 v32, v33, v39, vcc
	v_mov_b32_e32 v33, v34
	s_waitcnt lgkmcnt(0)
	v_cmp_lt_f32_e64 s[12:13], v31, v28
	s_and_saveexec_b64 s[14:15], s[12:13]
; %bb.26:                               ;   in Loop: Header=BB175_3 Depth=1
	v_cndmask_b32_e32 v29, v38, v29, vcc
	v_cndmask_b32_e32 v33, v39, v30, vcc
	v_mov_b32_e32 v37, 4
	v_mov_b32_e32 v32, v34
	;; [unrolled: 1-line block ×4, first 2 shown]
; %bb.27:                               ;   in Loop: Header=BB175_3 Depth=1
	s_or_b64 exec, exec, s[14:15]
	v_lshl_add_u32 v29, v37, 2, v36
	ds_read_b32 v38, v29
	v_add_u32_e32 v39, v37, v34
	v_mov_b32_e32 v37, -1
	s_waitcnt lgkmcnt(0)
	v_cmp_lt_f32_e32 vcc, v38, v28
	v_cndmask_b32_e64 v36, -2, 2, vcc
	v_lshl_add_u32 v29, v36, 2, v29
	ds_read_b32 v30, v29
	v_add_u32_e32 v36, v36, v39
	v_cndmask_b32_e32 v34, v32, v39, vcc
	v_cndmask_b32_e32 v35, v35, v38, vcc
	v_mov_b32_e32 v32, v36
	s_waitcnt lgkmcnt(0)
	v_cmp_lt_f32_e64 s[12:13], v30, v28
	s_and_saveexec_b64 s[14:15], s[12:13]
; %bb.28:                               ;   in Loop: Header=BB175_3 Depth=1
	v_cndmask_b32_e32 v31, v38, v31, vcc
	v_cndmask_b32_e32 v32, v39, v33, vcc
	v_mov_b32_e32 v37, 1
	v_mov_b32_e32 v34, v36
	;; [unrolled: 1-line block ×4, first 2 shown]
; %bb.29:                               ;   in Loop: Header=BB175_3 Depth=1
	s_or_b64 exec, exec, s[14:15]
	v_lshl_add_u32 v29, v37, 2, v29
	ds_read_b32 v33, v29
	v_add_u32_e32 v31, v37, v36
                                        ; implicit-def: $vgpr29
	s_waitcnt lgkmcnt(0)
	v_cmp_nlt_f32_e32 vcc, v33, v28
	s_and_saveexec_b64 s[12:13], vcc
	s_xor_b64 s[12:13], exec, s[12:13]
; %bb.30:                               ;   in Loop: Header=BB175_3 Depth=1
	v_add_f32_e32 v29, v35, v33
	v_mul_f32_e32 v29, 0.5, v29
	v_cmp_gt_f32_e32 vcc, v29, v28
	v_cndmask_b32_e32 v29, v31, v34, vcc
                                        ; implicit-def: $vgpr30
                                        ; implicit-def: $vgpr33
                                        ; implicit-def: $vgpr28
                                        ; implicit-def: $vgpr31
                                        ; implicit-def: $vgpr32
; %bb.31:                               ;   in Loop: Header=BB175_3 Depth=1
	s_andn2_saveexec_b64 s[12:13], s[12:13]
; %bb.32:                               ;   in Loop: Header=BB175_3 Depth=1
	v_add_f32_e32 v29, v30, v33
	v_mul_f32_e32 v29, 0.5, v29
	v_cmp_lt_f32_e32 vcc, v29, v28
	v_cndmask_b32_e32 v29, v31, v32, vcc
; %bb.33:                               ;   in Loop: Header=BB175_3 Depth=1
	s_or_b64 exec, exec, s[12:13]
	v_lshlrev_b32_e32 v28, 2, v29
	v_mad_u32_u24 v28, v1, s37, v28
	ds_read_b32 v28, v28
	s_waitcnt lgkmcnt(0)
	v_xor_b32_e32 v28, v28, v27
	v_cmp_gt_i32_e32 vcc, 0, v28
	s_and_saveexec_b64 s[12:13], vcc
	s_cbranch_execz .LBB175_39
; %bb.34:                               ;   in Loop: Header=BB175_3 Depth=1
	v_cmp_nlt_f32_e32 vcc, 0, v27
	s_and_saveexec_b64 s[14:15], vcc
	s_xor_b64 s[14:15], exec, s[14:15]
; %bb.35:                               ;   in Loop: Header=BB175_3 Depth=1
	v_add_u16_e32 v29, -1, v29
; %bb.36:                               ;   in Loop: Header=BB175_3 Depth=1
	s_andn2_saveexec_b64 s[14:15], s[14:15]
; %bb.37:                               ;   in Loop: Header=BB175_3 Depth=1
	v_add_u16_e32 v29, 1, v29
; %bb.38:                               ;   in Loop: Header=BB175_3 Depth=1
	s_or_b64 exec, exec, s[14:15]
.LBB175_39:                             ;   in Loop: Header=BB175_3 Depth=1
	s_or_b64 exec, exec, s[12:13]
	s_barrier
	ds_write_b8 v7, v29 offset:2064
	; wave barrier
	s_and_saveexec_b64 s[12:13], s[10:11]
	s_cbranch_execz .LBB175_2
; %bb.40:                               ;   in Loop: Header=BB175_3 Depth=1
	ds_read_u8 v31, v7 offset:2064
	v_mov_b32_e32 v28, s39
	v_add_co_u32_e32 v29, vcc, s38, v6
	v_addc_co_u32_e32 v30, vcc, 0, v28, vcc
	v_add_co_u32_e32 v28, vcc, v29, v8
	v_addc_co_u32_e32 v29, vcc, 0, v30, vcc
	s_waitcnt lgkmcnt(0)
	global_store_byte v[28:29], v31, off
	s_branch .LBB175_2
.LBB175_41:
	s_endpgm
	.section	.rodata,"a",@progbits
	.p2align	6, 0x0
	.amdhsa_kernel _Z35kOptimizerStatic8bit1StateBlockwiseI6__halfLi5ELi256ELi1EEvPT_S2_PhfffifPfS4_ffbi
		.amdhsa_group_segment_fixed_size 2592
		.amdhsa_private_segment_fixed_size 0
		.amdhsa_kernarg_size 336
		.amdhsa_user_sgpr_count 6
		.amdhsa_user_sgpr_private_segment_buffer 1
		.amdhsa_user_sgpr_dispatch_ptr 0
		.amdhsa_user_sgpr_queue_ptr 0
		.amdhsa_user_sgpr_kernarg_segment_ptr 1
		.amdhsa_user_sgpr_dispatch_id 0
		.amdhsa_user_sgpr_flat_scratch_init 0
		.amdhsa_user_sgpr_kernarg_preload_length 0
		.amdhsa_user_sgpr_kernarg_preload_offset 0
		.amdhsa_user_sgpr_private_segment_size 0
		.amdhsa_uses_dynamic_stack 0
		.amdhsa_system_sgpr_private_segment_wavefront_offset 0
		.amdhsa_system_sgpr_workgroup_id_x 1
		.amdhsa_system_sgpr_workgroup_id_y 0
		.amdhsa_system_sgpr_workgroup_id_z 0
		.amdhsa_system_sgpr_workgroup_info 0
		.amdhsa_system_vgpr_workitem_id 0
		.amdhsa_next_free_vgpr 41
		.amdhsa_next_free_sgpr 40
		.amdhsa_accum_offset 44
		.amdhsa_reserve_vcc 1
		.amdhsa_reserve_flat_scratch 0
		.amdhsa_float_round_mode_32 0
		.amdhsa_float_round_mode_16_64 0
		.amdhsa_float_denorm_mode_32 3
		.amdhsa_float_denorm_mode_16_64 3
		.amdhsa_dx10_clamp 1
		.amdhsa_ieee_mode 1
		.amdhsa_fp16_overflow 0
		.amdhsa_tg_split 0
		.amdhsa_exception_fp_ieee_invalid_op 0
		.amdhsa_exception_fp_denorm_src 0
		.amdhsa_exception_fp_ieee_div_zero 0
		.amdhsa_exception_fp_ieee_overflow 0
		.amdhsa_exception_fp_ieee_underflow 0
		.amdhsa_exception_fp_ieee_inexact 0
		.amdhsa_exception_int_div_zero 0
	.end_amdhsa_kernel
	.section	.text._Z35kOptimizerStatic8bit1StateBlockwiseI6__halfLi5ELi256ELi1EEvPT_S2_PhfffifPfS4_ffbi,"axG",@progbits,_Z35kOptimizerStatic8bit1StateBlockwiseI6__halfLi5ELi256ELi1EEvPT_S2_PhfffifPfS4_ffbi,comdat
.Lfunc_end175:
	.size	_Z35kOptimizerStatic8bit1StateBlockwiseI6__halfLi5ELi256ELi1EEvPT_S2_PhfffifPfS4_ffbi, .Lfunc_end175-_Z35kOptimizerStatic8bit1StateBlockwiseI6__halfLi5ELi256ELi1EEvPT_S2_PhfffifPfS4_ffbi
                                        ; -- End function
	.section	.AMDGPU.csdata,"",@progbits
; Kernel info:
; codeLenInByte = 1964
; NumSgprs: 44
; NumVgprs: 41
; NumAgprs: 0
; TotalNumVgprs: 41
; ScratchSize: 0
; MemoryBound: 0
; FloatMode: 240
; IeeeMode: 1
; LDSByteSize: 2592 bytes/workgroup (compile time only)
; SGPRBlocks: 5
; VGPRBlocks: 5
; NumSGPRsForWavesPerEU: 44
; NumVGPRsForWavesPerEU: 41
; AccumOffset: 44
; Occupancy: 8
; WaveLimiterHint : 0
; COMPUTE_PGM_RSRC2:SCRATCH_EN: 0
; COMPUTE_PGM_RSRC2:USER_SGPR: 6
; COMPUTE_PGM_RSRC2:TRAP_HANDLER: 0
; COMPUTE_PGM_RSRC2:TGID_X_EN: 1
; COMPUTE_PGM_RSRC2:TGID_Y_EN: 0
; COMPUTE_PGM_RSRC2:TGID_Z_EN: 0
; COMPUTE_PGM_RSRC2:TIDIG_COMP_CNT: 0
; COMPUTE_PGM_RSRC3_GFX90A:ACCUM_OFFSET: 10
; COMPUTE_PGM_RSRC3_GFX90A:TG_SPLIT: 0
	.section	.text._Z35kOptimizerStatic8bit1StateBlockwiseI12hip_bfloat16Li5ELi256ELi1EEvPT_S2_PhfffifPfS4_ffbi,"axG",@progbits,_Z35kOptimizerStatic8bit1StateBlockwiseI12hip_bfloat16Li5ELi256ELi1EEvPT_S2_PhfffifPfS4_ffbi,comdat
